;; amdgpu-corpus repo=ggml-org/llama.cpp kind=compiled arch=gfx1250 opt=O3
	.amdgcn_target "amdgcn-amd-amdhsa--gfx1250"
	.amdhsa_code_object_version 6
	.section	.text._ZL13add_id_kernelPKfS0_PKiPfllmmmm,"axG",@progbits,_ZL13add_id_kernelPKfS0_PKiPfllmmmm,comdat
	.globl	_ZL13add_id_kernelPKfS0_PKiPfllmmmm ; -- Begin function _ZL13add_id_kernelPKfS0_PKiPfllmmmm
	.p2align	8
	.type	_ZL13add_id_kernelPKfS0_PKiPfllmmmm,@function
_ZL13add_id_kernelPKfS0_PKiPfllmmmm:    ; @_ZL13add_id_kernelPKfS0_PKiPfllmmmm
; %bb.0:
	s_load_b512 s[4:19], s[0:1], 0x0
	v_mov_b32_e32 v1, 0
	s_mov_b32 s2, exec_lo
	s_wait_kmcnt 0x0
	s_delay_alu instid0(VALU_DEP_1)
	v_cmpx_gt_i64_e64 s[12:13], v[0:1]
	s_cbranch_execz .LBB0_3
; %bb.1:
	s_clause 0x1
	s_load_b128 s[20:23], s[0:1], 0x40
	s_load_b32 s28, s[0:1], 0x5c
	s_bfe_u32 s24, ttmp6, 0x4000c
	s_bfe_u32 s25, ttmp6, 0x40010
	s_add_co_i32 s24, s24, 1
	s_add_co_i32 s25, s25, 1
	s_and_b32 s2, ttmp6, 15
	s_bfe_u32 s26, ttmp6, 0x40004
	s_mul_i32 s24, ttmp9, s24
	s_mul_i32 s25, ttmp7, s25
	s_getreg_b32 s27, hwreg(HW_REG_IB_STS2, 6, 4)
	s_add_co_i32 s2, s2, s24
	s_add_co_i32 s26, s26, s25
	s_cmp_eq_u32 s27, 0
	s_mov_b32 s3, 0
	s_cselect_b32 s2, ttmp9, s2
	s_cselect_b32 s24, ttmp7, s26
	s_wait_xcnt 0x0
	s_lshl_b64 s[0:1], s[2:3], 2
	s_mov_b32 s25, s3
	s_add_nc_u64 s[0:1], s[8:9], s[0:1]
	s_wait_kmcnt 0x0
	s_mul_u64 s[8:9], s[22:23], s[24:25]
	s_mul_u64 s[16:17], s[16:17], s[2:3]
	s_add_nc_u64 s[0:1], s[0:1], s[8:9]
	s_lshl_b64 s[8:9], s[12:13], 2
	s_load_b32 s22, s[0:1], 0x0
	s_mul_u64 s[26:27], s[8:9], s[2:3]
	s_mul_u64 s[8:9], s[8:9], s[24:25]
	s_add_nc_u64 s[10:11], s[10:11], s[26:27]
	s_mul_u64 s[8:9], s[8:9], s[14:15]
	v_dual_mov_b32 v3, v1 :: v_dual_lshlrev_b32 v2, 2, v0
	s_mul_u64 s[18:19], s[18:19], s[24:25]
	s_add_nc_u64 s[14:15], s[4:5], s[16:17]
	s_add_nc_u64 s[4:5], s[10:11], s[8:9]
	s_and_b32 s2, s28, 0xffff
	s_wait_xcnt 0x0
	s_mov_b32 s1, s3
	s_add_nc_u64 s[8:9], s[14:15], s[18:19]
	s_lshl_b32 s0, s2, 2
	s_wait_kmcnt 0x0
	s_ashr_i32 s23, s22, 31
	s_delay_alu instid0(SALU_CYCLE_1) | instskip(NEXT) | instid1(SALU_CYCLE_1)
	s_mul_u64 s[10:11], s[20:21], s[22:23]
	s_add_nc_u64 s[6:7], s[6:7], s[10:11]
	s_mov_b32 s10, s3
.LBB0_2:                                ; =>This Inner Loop Header: Depth=1
	v_add_nc_u64_e32 v[4:5], s[8:9], v[2:3]
	v_add_nc_u64_e32 v[6:7], s[6:7], v[2:3]
	;; [unrolled: 1-line block ×3, first 2 shown]
	global_load_b32 v8, v[4:5], off
	global_load_b32 v9, v[6:7], off
	s_wait_xcnt 0x1
	v_add_nc_u64_e32 v[4:5], s[4:5], v[2:3]
	v_cmp_le_i64_e32 vcc_lo, s[12:13], v[0:1]
	v_add_nc_u64_e32 v[2:3], s[0:1], v[2:3]
	s_or_b32 s10, vcc_lo, s10
	s_wait_loadcnt 0x0
	s_wait_xcnt 0x0
	v_add_f32_e32 v6, v8, v9
	global_store_b32 v[4:5], v6, off
	s_wait_xcnt 0x0
	s_and_not1_b32 exec_lo, exec_lo, s10
	s_cbranch_execnz .LBB0_2
.LBB0_3:
	s_endpgm
	.section	.rodata,"a",@progbits
	.p2align	6, 0x0
	.amdhsa_kernel _ZL13add_id_kernelPKfS0_PKiPfllmmmm
		.amdhsa_group_segment_fixed_size 0
		.amdhsa_private_segment_fixed_size 0
		.amdhsa_kernarg_size 336
		.amdhsa_user_sgpr_count 2
		.amdhsa_user_sgpr_dispatch_ptr 0
		.amdhsa_user_sgpr_queue_ptr 0
		.amdhsa_user_sgpr_kernarg_segment_ptr 1
		.amdhsa_user_sgpr_dispatch_id 0
		.amdhsa_user_sgpr_kernarg_preload_length 0
		.amdhsa_user_sgpr_kernarg_preload_offset 0
		.amdhsa_user_sgpr_private_segment_size 0
		.amdhsa_wavefront_size32 1
		.amdhsa_uses_dynamic_stack 0
		.amdhsa_enable_private_segment 0
		.amdhsa_system_sgpr_workgroup_id_x 1
		.amdhsa_system_sgpr_workgroup_id_y 1
		.amdhsa_system_sgpr_workgroup_id_z 0
		.amdhsa_system_sgpr_workgroup_info 0
		.amdhsa_system_vgpr_workitem_id 0
		.amdhsa_next_free_vgpr 10
		.amdhsa_next_free_sgpr 29
		.amdhsa_named_barrier_count 0
		.amdhsa_reserve_vcc 1
		.amdhsa_float_round_mode_32 0
		.amdhsa_float_round_mode_16_64 0
		.amdhsa_float_denorm_mode_32 3
		.amdhsa_float_denorm_mode_16_64 3
		.amdhsa_fp16_overflow 0
		.amdhsa_memory_ordered 1
		.amdhsa_forward_progress 1
		.amdhsa_inst_pref_size 3
		.amdhsa_round_robin_scheduling 0
		.amdhsa_exception_fp_ieee_invalid_op 0
		.amdhsa_exception_fp_denorm_src 0
		.amdhsa_exception_fp_ieee_div_zero 0
		.amdhsa_exception_fp_ieee_overflow 0
		.amdhsa_exception_fp_ieee_underflow 0
		.amdhsa_exception_fp_ieee_inexact 0
		.amdhsa_exception_int_div_zero 0
	.end_amdhsa_kernel
	.section	.text._ZL13add_id_kernelPKfS0_PKiPfllmmmm,"axG",@progbits,_ZL13add_id_kernelPKfS0_PKiPfllmmmm,comdat
.Lfunc_end0:
	.size	_ZL13add_id_kernelPKfS0_PKiPfllmmmm, .Lfunc_end0-_ZL13add_id_kernelPKfS0_PKiPfllmmmm
                                        ; -- End function
	.set _ZL13add_id_kernelPKfS0_PKiPfllmmmm.num_vgpr, 10
	.set _ZL13add_id_kernelPKfS0_PKiPfllmmmm.num_agpr, 0
	.set _ZL13add_id_kernelPKfS0_PKiPfllmmmm.numbered_sgpr, 29
	.set _ZL13add_id_kernelPKfS0_PKiPfllmmmm.num_named_barrier, 0
	.set _ZL13add_id_kernelPKfS0_PKiPfllmmmm.private_seg_size, 0
	.set _ZL13add_id_kernelPKfS0_PKiPfllmmmm.uses_vcc, 1
	.set _ZL13add_id_kernelPKfS0_PKiPfllmmmm.uses_flat_scratch, 0
	.set _ZL13add_id_kernelPKfS0_PKiPfllmmmm.has_dyn_sized_stack, 0
	.set _ZL13add_id_kernelPKfS0_PKiPfllmmmm.has_recursion, 0
	.set _ZL13add_id_kernelPKfS0_PKiPfllmmmm.has_indirect_call, 0
	.section	.AMDGPU.csdata,"",@progbits
; Kernel info:
; codeLenInByte = 352
; TotalNumSgprs: 31
; NumVgprs: 10
; ScratchSize: 0
; MemoryBound: 0
; FloatMode: 240
; IeeeMode: 1
; LDSByteSize: 0 bytes/workgroup (compile time only)
; SGPRBlocks: 0
; VGPRBlocks: 0
; NumSGPRsForWavesPerEU: 31
; NumVGPRsForWavesPerEU: 10
; NamedBarCnt: 0
; Occupancy: 16
; WaveLimiterHint : 1
; COMPUTE_PGM_RSRC2:SCRATCH_EN: 0
; COMPUTE_PGM_RSRC2:USER_SGPR: 2
; COMPUTE_PGM_RSRC2:TRAP_HANDLER: 0
; COMPUTE_PGM_RSRC2:TGID_X_EN: 1
; COMPUTE_PGM_RSRC2:TGID_Y_EN: 1
; COMPUTE_PGM_RSRC2:TGID_Z_EN: 0
; COMPUTE_PGM_RSRC2:TIDIG_COMP_CNT: 0
	.section	.AMDGPU.gpr_maximums,"",@progbits
	.set amdgpu.max_num_vgpr, 0
	.set amdgpu.max_num_agpr, 0
	.set amdgpu.max_num_sgpr, 0
	.section	.AMDGPU.csdata,"",@progbits
	.type	__hip_cuid_bc5f14eae8ed3d03,@object ; @__hip_cuid_bc5f14eae8ed3d03
	.section	.bss,"aw",@nobits
	.globl	__hip_cuid_bc5f14eae8ed3d03
__hip_cuid_bc5f14eae8ed3d03:
	.byte	0                               ; 0x0
	.size	__hip_cuid_bc5f14eae8ed3d03, 1

	.ident	"AMD clang version 22.0.0git (https://github.com/RadeonOpenCompute/llvm-project roc-7.2.4 26084 f58b06dce1f9c15707c5f808fd002e18c2accf7e)"
	.section	".note.GNU-stack","",@progbits
	.addrsig
	.addrsig_sym __hip_cuid_bc5f14eae8ed3d03
	.amdgpu_metadata
---
amdhsa.kernels:
  - .args:
      - .address_space:  global
        .offset:         0
        .size:           8
        .value_kind:     global_buffer
      - .address_space:  global
        .offset:         8
        .size:           8
        .value_kind:     global_buffer
      - .address_space:  global
        .offset:         16
        .size:           8
        .value_kind:     global_buffer
      - .address_space:  global
        .offset:         24
        .size:           8
        .value_kind:     global_buffer
      - .offset:         32
        .size:           8
        .value_kind:     by_value
      - .offset:         40
        .size:           8
        .value_kind:     by_value
      - .offset:         48
        .size:           8
        .value_kind:     by_value
      - .offset:         56
        .size:           8
        .value_kind:     by_value
      - .offset:         64
        .size:           8
        .value_kind:     by_value
      - .offset:         72
        .size:           8
        .value_kind:     by_value
      - .offset:         80
        .size:           4
        .value_kind:     hidden_block_count_x
      - .offset:         84
        .size:           4
        .value_kind:     hidden_block_count_y
      - .offset:         88
        .size:           4
        .value_kind:     hidden_block_count_z
      - .offset:         92
        .size:           2
        .value_kind:     hidden_group_size_x
      - .offset:         94
        .size:           2
        .value_kind:     hidden_group_size_y
      - .offset:         96
        .size:           2
        .value_kind:     hidden_group_size_z
      - .offset:         98
        .size:           2
        .value_kind:     hidden_remainder_x
      - .offset:         100
        .size:           2
        .value_kind:     hidden_remainder_y
      - .offset:         102
        .size:           2
        .value_kind:     hidden_remainder_z
      - .offset:         120
        .size:           8
        .value_kind:     hidden_global_offset_x
      - .offset:         128
        .size:           8
        .value_kind:     hidden_global_offset_y
      - .offset:         136
        .size:           8
        .value_kind:     hidden_global_offset_z
      - .offset:         144
        .size:           2
        .value_kind:     hidden_grid_dims
    .group_segment_fixed_size: 0
    .kernarg_segment_align: 8
    .kernarg_segment_size: 336
    .language:       OpenCL C
    .language_version:
      - 2
      - 0
    .max_flat_workgroup_size: 1024
    .name:           _ZL13add_id_kernelPKfS0_PKiPfllmmmm
    .private_segment_fixed_size: 0
    .sgpr_count:     31
    .sgpr_spill_count: 0
    .symbol:         _ZL13add_id_kernelPKfS0_PKiPfllmmmm.kd
    .uniform_work_group_size: 1
    .uses_dynamic_stack: false
    .vgpr_count:     10
    .vgpr_spill_count: 0
    .wavefront_size: 32
amdhsa.target:   amdgcn-amd-amdhsa--gfx1250
amdhsa.version:
  - 1
  - 2
...

	.end_amdgpu_metadata
